;; amdgpu-corpus repo=ROCm/rocFFT kind=compiled arch=gfx950 opt=O3
	.text
	.amdgcn_target "amdgcn-amd-amdhsa--gfx950"
	.amdhsa_code_object_version 6
	.protected	fft_rtc_back_len1040_factors_13_16_5_wgs_208_tpt_208_halfLds_sp_op_CI_CI_sbrr_dirReg ; -- Begin function fft_rtc_back_len1040_factors_13_16_5_wgs_208_tpt_208_halfLds_sp_op_CI_CI_sbrr_dirReg
	.globl	fft_rtc_back_len1040_factors_13_16_5_wgs_208_tpt_208_halfLds_sp_op_CI_CI_sbrr_dirReg
	.p2align	8
	.type	fft_rtc_back_len1040_factors_13_16_5_wgs_208_tpt_208_halfLds_sp_op_CI_CI_sbrr_dirReg,@function
fft_rtc_back_len1040_factors_13_16_5_wgs_208_tpt_208_halfLds_sp_op_CI_CI_sbrr_dirReg: ; @fft_rtc_back_len1040_factors_13_16_5_wgs_208_tpt_208_halfLds_sp_op_CI_CI_sbrr_dirReg
; %bb.0:
	s_load_dwordx4 s[12:15], s[0:1], 0x18
	s_load_dwordx4 s[8:11], s[0:1], 0x0
	;; [unrolled: 1-line block ×3, first 2 shown]
	v_mul_u32_u24_e32 v1, 0x13c, v0
	v_add_u32_sdwa v10, s2, v1 dst_sel:DWORD dst_unused:UNUSED_PAD src0_sel:DWORD src1_sel:WORD_1
	s_waitcnt lgkmcnt(0)
	s_load_dwordx2 s[18:19], s[12:13], 0x0
	s_load_dwordx2 s[16:17], s[14:15], 0x0
	v_mov_b32_e32 v2, 0
	v_cmp_lt_u64_e64 s[2:3], s[10:11], 2
	v_mov_b32_e32 v11, v2
	s_and_b64 vcc, exec, s[2:3]
	v_mov_b64_e32 v[8:9], 0
	s_cbranch_vccnz .LBB0_8
; %bb.1:
	s_load_dwordx2 s[2:3], s[0:1], 0x10
	s_add_u32 s20, s14, 8
	s_addc_u32 s21, s15, 0
	s_add_u32 s22, s12, 8
	s_addc_u32 s23, s13, 0
	s_waitcnt lgkmcnt(0)
	s_add_u32 s24, s2, 8
	v_mov_b64_e32 v[8:9], 0
	s_addc_u32 s25, s3, 0
	s_mov_b64 s[26:27], 1
	v_mov_b64_e32 v[4:5], v[8:9]
.LBB0_2:                                ; =>This Inner Loop Header: Depth=1
	s_load_dwordx2 s[28:29], s[24:25], 0x0
                                        ; implicit-def: $vgpr6_vgpr7
	s_waitcnt lgkmcnt(0)
	v_or_b32_e32 v3, s29, v11
	v_cmp_ne_u64_e32 vcc, 0, v[2:3]
	s_and_saveexec_b64 s[2:3], vcc
	s_xor_b64 s[30:31], exec, s[2:3]
	s_cbranch_execz .LBB0_4
; %bb.3:                                ;   in Loop: Header=BB0_2 Depth=1
	v_cvt_f32_u32_e32 v1, s28
	v_cvt_f32_u32_e32 v3, s29
	s_sub_u32 s2, 0, s28
	s_subb_u32 s3, 0, s29
	v_fmac_f32_e32 v1, 0x4f800000, v3
	v_rcp_f32_e32 v1, v1
	s_nop 0
	v_mul_f32_e32 v1, 0x5f7ffffc, v1
	v_mul_f32_e32 v3, 0x2f800000, v1
	v_trunc_f32_e32 v3, v3
	v_fmac_f32_e32 v1, 0xcf800000, v3
	v_cvt_u32_f32_e32 v3, v3
	v_cvt_u32_f32_e32 v1, v1
	v_mul_lo_u32 v6, s2, v3
	v_mul_hi_u32 v12, s2, v1
	v_mul_lo_u32 v7, s3, v1
	v_add_u32_e32 v12, v12, v6
	v_mul_lo_u32 v14, s2, v1
	v_add_u32_e32 v15, v12, v7
	v_mul_hi_u32 v6, v1, v14
	v_mul_hi_u32 v13, v1, v15
	v_mul_lo_u32 v12, v1, v15
	v_mov_b32_e32 v7, v2
	v_lshl_add_u64 v[6:7], v[6:7], 0, v[12:13]
	v_mul_hi_u32 v13, v3, v14
	v_mul_lo_u32 v14, v3, v14
	v_add_co_u32_e32 v6, vcc, v6, v14
	v_mul_hi_u32 v12, v3, v15
	s_nop 0
	v_addc_co_u32_e32 v6, vcc, v7, v13, vcc
	v_mov_b32_e32 v7, v2
	s_nop 0
	v_addc_co_u32_e32 v13, vcc, 0, v12, vcc
	v_mul_lo_u32 v12, v3, v15
	v_lshl_add_u64 v[6:7], v[6:7], 0, v[12:13]
	v_add_co_u32_e32 v1, vcc, v1, v6
	v_mul_lo_u32 v12, s2, v1
	s_nop 0
	v_addc_co_u32_e32 v3, vcc, v3, v7, vcc
	v_mul_lo_u32 v6, s2, v3
	v_mul_hi_u32 v7, s2, v1
	v_add_u32_e32 v6, v7, v6
	v_mul_lo_u32 v7, s3, v1
	v_add_u32_e32 v14, v6, v7
	v_mul_hi_u32 v16, v3, v12
	v_mul_lo_u32 v17, v3, v12
	v_mul_hi_u32 v7, v1, v14
	v_mul_lo_u32 v6, v1, v14
	v_mul_hi_u32 v12, v1, v12
	v_mov_b32_e32 v13, v2
	v_lshl_add_u64 v[6:7], v[12:13], 0, v[6:7]
	v_add_co_u32_e32 v6, vcc, v6, v17
	v_mul_hi_u32 v15, v3, v14
	s_nop 0
	v_addc_co_u32_e32 v6, vcc, v7, v16, vcc
	v_mul_lo_u32 v12, v3, v14
	s_nop 0
	v_addc_co_u32_e32 v13, vcc, 0, v15, vcc
	v_mov_b32_e32 v7, v2
	v_lshl_add_u64 v[6:7], v[6:7], 0, v[12:13]
	v_add_co_u32_e32 v1, vcc, v1, v6
	v_mul_hi_u32 v12, v10, v1
	s_nop 0
	v_addc_co_u32_e32 v3, vcc, v3, v7, vcc
	v_mad_u64_u32 v[6:7], s[2:3], v10, v3, 0
	v_mov_b32_e32 v13, v2
	v_lshl_add_u64 v[6:7], v[12:13], 0, v[6:7]
	v_mad_u64_u32 v[14:15], s[2:3], v11, v1, 0
	v_add_co_u32_e32 v1, vcc, v6, v14
	v_mad_u64_u32 v[12:13], s[2:3], v11, v3, 0
	s_nop 0
	v_addc_co_u32_e32 v6, vcc, v7, v15, vcc
	v_mov_b32_e32 v7, v2
	s_nop 0
	v_addc_co_u32_e32 v13, vcc, 0, v13, vcc
	v_lshl_add_u64 v[6:7], v[6:7], 0, v[12:13]
	v_mul_lo_u32 v1, s29, v6
	v_mul_lo_u32 v3, s28, v7
	v_mad_u64_u32 v[12:13], s[2:3], s28, v6, 0
	v_add3_u32 v1, v13, v3, v1
	v_sub_u32_e32 v3, v11, v1
	v_mov_b32_e32 v13, s29
	v_sub_co_u32_e32 v16, vcc, v10, v12
	v_lshl_add_u64 v[14:15], v[6:7], 0, 1
	s_nop 0
	v_subb_co_u32_e64 v3, s[2:3], v3, v13, vcc
	v_subrev_co_u32_e64 v12, s[2:3], s28, v16
	v_subb_co_u32_e32 v1, vcc, v11, v1, vcc
	s_nop 0
	v_subbrev_co_u32_e64 v3, s[2:3], 0, v3, s[2:3]
	v_cmp_le_u32_e64 s[2:3], s29, v3
	v_cmp_le_u32_e32 vcc, s29, v1
	s_nop 0
	v_cndmask_b32_e64 v13, 0, -1, s[2:3]
	v_cmp_le_u32_e64 s[2:3], s28, v12
	s_nop 1
	v_cndmask_b32_e64 v12, 0, -1, s[2:3]
	v_cmp_eq_u32_e64 s[2:3], s29, v3
	s_nop 1
	v_cndmask_b32_e64 v3, v13, v12, s[2:3]
	v_lshl_add_u64 v[12:13], v[6:7], 0, 2
	v_cmp_ne_u32_e64 s[2:3], 0, v3
	s_nop 1
	v_cndmask_b32_e64 v3, v15, v13, s[2:3]
	v_cndmask_b32_e64 v13, 0, -1, vcc
	v_cmp_le_u32_e32 vcc, s28, v16
	s_nop 1
	v_cndmask_b32_e64 v15, 0, -1, vcc
	v_cmp_eq_u32_e32 vcc, s29, v1
	s_nop 1
	v_cndmask_b32_e32 v1, v13, v15, vcc
	v_cmp_ne_u32_e32 vcc, 0, v1
	v_cndmask_b32_e64 v1, v14, v12, s[2:3]
	s_nop 0
	v_cndmask_b32_e32 v7, v7, v3, vcc
	v_cndmask_b32_e32 v6, v6, v1, vcc
.LBB0_4:                                ;   in Loop: Header=BB0_2 Depth=1
	s_andn2_saveexec_b64 s[2:3], s[30:31]
	s_cbranch_execz .LBB0_6
; %bb.5:                                ;   in Loop: Header=BB0_2 Depth=1
	v_cvt_f32_u32_e32 v1, s28
	s_sub_i32 s30, 0, s28
	v_rcp_iflag_f32_e32 v1, v1
	s_nop 0
	v_mul_f32_e32 v1, 0x4f7ffffe, v1
	v_cvt_u32_f32_e32 v1, v1
	v_mul_lo_u32 v3, s30, v1
	v_mul_hi_u32 v3, v1, v3
	v_add_u32_e32 v1, v1, v3
	v_mul_hi_u32 v1, v10, v1
	v_mul_lo_u32 v3, v1, s28
	v_sub_u32_e32 v3, v10, v3
	v_add_u32_e32 v6, 1, v1
	v_subrev_u32_e32 v7, s28, v3
	v_cmp_le_u32_e32 vcc, s28, v3
	s_nop 1
	v_cndmask_b32_e32 v3, v3, v7, vcc
	v_cndmask_b32_e32 v1, v1, v6, vcc
	v_add_u32_e32 v6, 1, v1
	v_cmp_le_u32_e32 vcc, s28, v3
	v_mov_b32_e32 v7, v2
	s_nop 0
	v_cndmask_b32_e32 v6, v1, v6, vcc
.LBB0_6:                                ;   in Loop: Header=BB0_2 Depth=1
	s_or_b64 exec, exec, s[2:3]
	v_mad_u64_u32 v[12:13], s[2:3], v6, s28, 0
	s_load_dwordx2 s[2:3], s[22:23], 0x0
	v_mul_lo_u32 v1, v7, s28
	v_mul_lo_u32 v3, v6, s29
	s_load_dwordx2 s[28:29], s[20:21], 0x0
	s_add_u32 s26, s26, 1
	v_add3_u32 v1, v13, v3, v1
	v_sub_co_u32_e32 v3, vcc, v10, v12
	s_addc_u32 s27, s27, 0
	s_nop 0
	v_subb_co_u32_e32 v1, vcc, v11, v1, vcc
	s_add_u32 s20, s20, 8
	s_waitcnt lgkmcnt(0)
	v_mul_lo_u32 v10, s2, v1
	v_mul_lo_u32 v11, s3, v3
	v_mad_u64_u32 v[8:9], s[2:3], s2, v3, v[8:9]
	s_addc_u32 s21, s21, 0
	v_add3_u32 v9, v11, v9, v10
	v_mul_lo_u32 v1, s28, v1
	v_mul_lo_u32 v10, s29, v3
	v_mad_u64_u32 v[4:5], s[2:3], s28, v3, v[4:5]
	s_add_u32 s22, s22, 8
	v_add3_u32 v5, v10, v5, v1
	s_addc_u32 s23, s23, 0
	v_mov_b64_e32 v[10:11], s[10:11]
	s_add_u32 s24, s24, 8
	v_cmp_ge_u64_e32 vcc, s[26:27], v[10:11]
	s_addc_u32 s25, s25, 0
	s_cbranch_vccnz .LBB0_9
; %bb.7:                                ;   in Loop: Header=BB0_2 Depth=1
	v_mov_b64_e32 v[10:11], v[6:7]
	s_branch .LBB0_2
.LBB0_8:
	v_mov_b64_e32 v[4:5], v[8:9]
	v_mov_b64_e32 v[6:7], v[10:11]
.LBB0_9:
	s_load_dwordx2 s[0:1], s[0:1], 0x28
	s_lshl_b64 s[20:21], s[10:11], 3
	s_add_u32 s2, s14, s20
	s_addc_u32 s3, s15, s21
	s_load_dwordx2 s[10:11], s[2:3], 0x0
	s_waitcnt lgkmcnt(0)
	v_cmp_gt_u64_e32 vcc, s[0:1], v[6:7]
	s_mov_b32 s0, 0x13b13b2
	v_mul_hi_u32 v1, v0, s0
	v_mul_u32_u24_e32 v1, 0xd0, v1
	v_sub_u32_e32 v60, v0, v1
	v_mov_b32_e32 v61, 0
	v_mov_b32_e32 v1, 0
	;; [unrolled: 1-line block ×3, first 2 shown]
                                        ; implicit-def: $vgpr2
                                        ; implicit-def: $vgpr40
                                        ; implicit-def: $vgpr18
                                        ; implicit-def: $vgpr16
                                        ; implicit-def: $vgpr26
                                        ; implicit-def: $vgpr28
                                        ; implicit-def: $vgpr20
                                        ; implicit-def: $vgpr30
                                        ; implicit-def: $vgpr36
                                        ; implicit-def: $vgpr34
                                        ; implicit-def: $vgpr24
	s_and_saveexec_b64 s[2:3], vcc
	s_cbranch_execz .LBB0_13
; %bb.10:
	s_movk_i32 s0, 0x50
	v_cmp_gt_u32_e64 s[0:1], s0, v60
	v_mov_b32_e32 v11, 0
	v_mov_b32_e32 v1, 0
                                        ; implicit-def: $vgpr25
                                        ; implicit-def: $vgpr35
                                        ; implicit-def: $vgpr37
                                        ; implicit-def: $vgpr31
                                        ; implicit-def: $vgpr21
                                        ; implicit-def: $vgpr29
                                        ; implicit-def: $vgpr27
                                        ; implicit-def: $vgpr17
                                        ; implicit-def: $vgpr19
                                        ; implicit-def: $vgpr41
                                        ; implicit-def: $vgpr3
	s_and_saveexec_b64 s[14:15], s[0:1]
	s_cbranch_execz .LBB0_12
; %bb.11:
	s_add_u32 s0, s12, s20
	s_addc_u32 s1, s13, s21
	s_load_dwordx2 s[0:1], s[0:1], 0x0
	v_add_u32_e32 v13, 0xa0, v60
	v_add_u32_e32 v15, 0xf0, v60
	;; [unrolled: 1-line block ×4, first 2 shown]
	s_waitcnt lgkmcnt(0)
	v_mul_lo_u32 v2, s1, v6
	v_mul_lo_u32 v3, s0, v7
	v_mad_u64_u32 v[0:1], s[0:1], s0, v6, 0
	v_add3_u32 v1, v1, v3, v2
	v_mad_u64_u32 v[2:3], s[0:1], s18, v60, 0
	v_mov_b32_e32 v10, v3
	v_mad_u64_u32 v[10:11], s[0:1], s19, v60, v[10:11]
	v_lshl_add_u64 v[0:1], v[0:1], 3, s[4:5]
	v_add_u32_e32 v11, 0x50, v60
	v_lshl_add_u64 v[8:9], v[8:9], 3, v[0:1]
	v_mad_u64_u32 v[0:1], s[0:1], s18, v11, 0
	v_mov_b32_e32 v3, v10
	v_mov_b32_e32 v10, v1
	v_mad_u64_u32 v[10:11], s[0:1], s19, v11, v[10:11]
	v_mov_b32_e32 v1, v10
	v_lshl_add_u64 v[10:11], v[0:1], 3, v[8:9]
	v_mad_u64_u32 v[0:1], s[0:1], s18, v13, 0
	v_mov_b32_e32 v12, v1
	v_mad_u64_u32 v[12:13], s[0:1], s19, v13, v[12:13]
	v_mov_b32_e32 v1, v12
	v_lshl_add_u64 v[12:13], v[0:1], 3, v[8:9]
	v_mad_u64_u32 v[0:1], s[0:1], s18, v15, 0
	v_mov_b32_e32 v14, v1
	v_mad_u64_u32 v[14:15], s[0:1], s19, v15, v[14:15]
	v_lshl_add_u64 v[2:3], v[2:3], 3, v[8:9]
	v_mov_b32_e32 v1, v14
	v_lshl_add_u64 v[14:15], v[0:1], 3, v[8:9]
	global_load_dwordx2 v[0:1], v[2:3], off
	global_load_dwordx2 v[18:19], v[10:11], off
	;; [unrolled: 1-line block ×4, first 2 shown]
	v_add_u32_e32 v11, 0x140, v60
	v_mad_u64_u32 v[2:3], s[0:1], s18, v11, 0
	v_mov_b32_e32 v10, v3
	v_mad_u64_u32 v[10:11], s[0:1], s19, v11, v[10:11]
	v_add_u32_e32 v13, 0x190, v60
	v_mov_b32_e32 v3, v10
	v_mad_u64_u32 v[10:11], s[0:1], s18, v13, 0
	v_mov_b32_e32 v12, v11
	v_mad_u64_u32 v[12:13], s[0:1], s19, v13, v[12:13]
	v_add_u32_e32 v15, 0x1e0, v60
	v_mov_b32_e32 v11, v12
	v_mad_u64_u32 v[12:13], s[0:1], s18, v15, 0
	v_mov_b32_e32 v14, v13
	v_mad_u64_u32 v[14:15], s[0:1], s19, v15, v[14:15]
	;; [unrolled: 2-line block ×4, first 2 shown]
	v_lshl_add_u64 v[2:3], v[2:3], 3, v[8:9]
	v_lshl_add_u64 v[10:11], v[10:11], 3, v[8:9]
	v_mov_b32_e32 v15, v20
	v_lshl_add_u64 v[12:13], v[12:13], 3, v[8:9]
	v_lshl_add_u64 v[14:15], v[14:15], 3, v[8:9]
	global_load_dwordx2 v[22:23], v[2:3], off
	global_load_dwordx2 v[28:29], v[10:11], off
	;; [unrolled: 1-line block ×4, first 2 shown]
	v_or_b32_e32 v11, 0x280, v60
	v_mad_u64_u32 v[2:3], s[0:1], s18, v11, 0
	v_mov_b32_e32 v10, v3
	v_mad_u64_u32 v[10:11], s[0:1], s19, v11, v[10:11]
	v_mov_b32_e32 v3, v10
	v_add_u32_e32 v13, 0x2d0, v60
	v_lshl_add_u64 v[10:11], v[2:3], 3, v[8:9]
	v_mad_u64_u32 v[2:3], s[0:1], s18, v13, 0
	v_mov_b32_e32 v12, v3
	v_mad_u64_u32 v[12:13], s[0:1], s19, v13, v[12:13]
	v_mov_b32_e32 v3, v12
	v_add_u32_e32 v15, 0x320, v60
	v_lshl_add_u64 v[12:13], v[2:3], 3, v[8:9]
	v_mad_u64_u32 v[2:3], s[0:1], s18, v15, 0
	v_mov_b32_e32 v14, v3
	v_mad_u64_u32 v[14:15], s[0:1], s19, v15, v[14:15]
	v_mov_b32_e32 v3, v14
	v_lshl_add_u64 v[14:15], v[2:3], 3, v[8:9]
	v_mad_u64_u32 v[2:3], s[0:1], s18, v25, 0
	v_mov_b32_e32 v24, v3
	v_mad_u64_u32 v[24:25], s[0:1], s19, v25, v[24:25]
	v_mov_b32_e32 v3, v24
	v_add_u32_e32 v25, 0x3c0, v60
	v_lshl_add_u64 v[38:39], v[2:3], 3, v[8:9]
	v_mad_u64_u32 v[2:3], s[0:1], s18, v25, 0
	v_mov_b32_e32 v24, v3
	v_mad_u64_u32 v[24:25], s[0:1], s19, v25, v[24:25]
	v_mov_b32_e32 v3, v24
	v_lshl_add_u64 v[8:9], v[2:3], 3, v[8:9]
	global_load_dwordx2 v[2:3], v[8:9], off
	global_load_dwordx2 v[30:31], v[10:11], off
	;; [unrolled: 1-line block ×5, first 2 shown]
	s_waitcnt vmcnt(12)
	v_mov_b32_e32 v11, v0
	s_waitcnt vmcnt(8)
	v_mov_b32_e32 v40, v22
	;; [unrolled: 2-line block ×3, first 2 shown]
	v_mov_b32_e32 v0, v33
	s_waitcnt vmcnt(4)
	v_mov_b32_e32 v41, v2
	v_mov_b32_e32 v2, v23
.LBB0_12:
	s_or_b64 exec, exec, s[14:15]
	v_mov_b32_e32 v61, v60
.LBB0_13:
	s_or_b64 exec, exec, s[2:3]
	s_waitcnt vmcnt(0)
	v_pk_add_f32 v[42:43], v[16:17], v[24:25]
	v_pk_add_f32 v[44:45], v[16:17], v[24:25] neg_lo:[0,1] neg_hi:[0,1]
	s_mov_b32 s0, 0xbf52af12
	v_mov_b32_e32 v8, v45
	v_mov_b32_e32 v9, v42
	s_mov_b32 s1, 0x3f116cb1
	v_pk_mul_f32 v[32:33], v[8:9], s[0:1]
	v_pk_add_f32 v[54:55], v[26:27], v[34:35] neg_lo:[0,1] neg_hi:[0,1]
	v_mov_b32_e32 v13, v32
	v_pk_add_f32 v[56:57], v[26:27], v[34:35]
	v_pk_fma_f32 v[8:9], v[8:9], s[0:1], v[12:13]
	v_mov_b32_e32 v12, v55
	v_mov_b32_e32 v13, v56
	s_mov_b32 s5, 0x3df6dbef
	s_mov_b32 s4, 0xbf7e222b
	v_pk_mul_f32 v[38:39], v[12:13], s[4:5]
	s_mov_b32 s12, 0xbf6f5d39
	v_mov_b32_e32 v15, v38
	v_pk_fma_f32 v[12:13], v[12:13], s[4:5], v[14:15]
	v_mov_b32_e32 v14, v40
	v_mov_b32_e32 v15, v2
	v_pk_add_f32 v[62:63], v[14:15], v[36:37] neg_lo:[0,1] neg_hi:[0,1]
	v_pk_add_f32 v[64:65], v[14:15], v[36:37]
	v_mov_b32_e32 v14, v63
	v_mov_b32_e32 v15, v64
	s_mov_b32 s13, 0xbeb58ec6
	v_pk_mul_f32 v[58:59], v[14:15], s[12:13]
	v_pk_add_f32 v[50:51], v[28:29], v[30:31] neg_lo:[0,1] neg_hi:[0,1]
	v_mov_b32_e32 v23, v58
	v_pk_add_f32 v[52:53], v[28:29], v[30:31]
	s_mov_b32 s3, 0xbf3f9e67
	s_mov_b32 s2, 0xbf29c268
	v_pk_fma_f32 v[14:15], v[14:15], s[12:13], v[22:23]
	v_mov_b32_e32 v22, v51
	v_mov_b32_e32 v23, v52
	v_pk_mul_f32 v[66:67], v[22:23], s[2:3]
	v_mov_b32_e32 v68, v11
	v_mov_b32_e32 v47, v66
	v_pk_fma_f32 v[22:23], v[22:23], s[2:3], v[46:47]
	v_pk_add_f32 v[46:47], v[68:69], v[18:19] op_sel_hi:[0,1]
	v_pk_add_f32 v[46:47], v[46:47], v[16:17]
	v_pk_add_f32 v[72:73], v[18:19], v[2:3] neg_lo:[0,1] neg_hi:[0,1]
	v_pk_add_f32 v[46:47], v[46:47], v[26:27]
	v_mul_f32_e32 v75, 0xbeedf032, v73
	v_mov_b32_e32 v47, v18
	v_pk_add_f32 v[70:71], v[46:47], v[40:41]
	v_mov_b32_e32 v47, 0x3f62ad3f
	v_mov_b32_e32 v46, v28
	v_pk_mul_f32 v[46:47], v[70:71], v[46:47]
	v_pk_add_f32 v[48:49], v[70:71], v[28:29]
	v_mov_b32_e32 v74, v20
	v_mov_b32_e32 v49, v47
	v_pk_add_f32 v[48:49], v[48:49], v[74:75]
	v_fmac_f32_e32 v47, 0x3eedf032, v73
	v_pk_add_f32 v[48:49], v[48:49], v[10:11]
	v_mov_b32_e32 v8, v30
	v_add_f32_e32 v30, v11, v47
	v_mov_b32_e32 v11, v0
	v_pk_add_f32 v[8:9], v[48:49], v[8:9]
	v_pk_add_f32 v[46:47], v[20:21], v[10:11] neg_lo:[0,1] neg_hi:[0,1]
	v_pk_add_f32 v[48:49], v[20:21], v[10:11]
	s_mov_b32 s14, 0xbe750f2a
	s_mov_b32 s15, 0xbf788fa5
	v_mov_b32_e32 v10, v47
	v_mov_b32_e32 v11, v48
	;; [unrolled: 1-line block ×3, first 2 shown]
	v_pk_mul_f32 v[74:75], v[10:11], s[14:15]
	v_pk_add_f32 v[8:9], v[8:9], v[12:13]
	v_mov_b32_e32 v14, v34
	v_mov_b32_e32 v13, v74
	v_pk_add_f32 v[8:9], v[8:9], v[14:15]
	v_mov_b32_e32 v22, v24
	v_pk_fma_f32 v[10:11], v[10:11], s[14:15], v[12:13]
	v_pk_add_f32 v[8:9], v[8:9], v[22:23]
	v_mov_b32_e32 v10, v41
	s_mov_b32 s18, s0
	s_mov_b32 s19, s4
	v_pk_add_f32 v[8:9], v[8:9], v[10:11]
	s_mov_b32 s22, s12
	s_mov_b32 s23, s14
	;; [unrolled: 1-line block ×4, first 2 shown]
	v_pk_mul_f32 v[10:11], v[72:73], s[18:19] op_sel:[1,0]
	s_mov_b32 s20, s13
	s_mov_b32 s21, s15
	v_pk_fma_f32 v[12:13], v[70:71], s[24:25], v[10:11] op_sel:[1,0,0]
	v_pk_mul_f32 v[14:15], v[44:45], s[22:23] op_sel:[1,0]
	v_pk_add_f32 v[12:13], v[68:69], v[12:13] op_sel_hi:[0,1]
	v_pk_fma_f32 v[22:23], v[42:43], s[20:21], v[14:15] op_sel_hi:[0,1,1]
	s_mov_b32 s19, 0x3f6f5d39
	s_mov_b32 s18, s14
	v_pk_add_f32 v[12:13], v[22:23], v[12:13]
	s_mov_b32 s22, s15
	s_mov_b32 s23, s13
	v_pk_mul_f32 v[22:23], v[54:55], s[18:19] op_sel:[1,0]
	s_mov_b32 s27, 0x3eedf032
	v_pk_fma_f32 v[76:77], v[56:57], s[22:23], v[22:23] op_sel_hi:[0,1,1]
	s_mov_b32 s26, 0x3f29c268
	v_pk_add_f32 v[12:13], v[76:77], v[12:13]
	s_mov_b32 s19, 0x3f62ad3f
	s_mov_b32 s18, s3
	v_pk_mul_f32 v[76:77], v[62:63], s[26:27] op_sel:[1,0]
	v_pk_fma_f32 v[10:11], v[70:71], s[24:25], v[10:11] op_sel:[1,0,0] neg_lo:[0,0,1] neg_hi:[0,0,1]
	v_pk_fma_f32 v[78:79], v[64:65], s[18:19], v[76:77] op_sel_hi:[0,1,1]
	s_mov_b32 s30, 0x3f7e222b
	s_mov_b32 s31, s0
	v_pk_fma_f32 v[14:15], v[42:43], s[20:21], v[14:15] op_sel_hi:[0,1,1] neg_lo:[0,0,1] neg_hi:[0,0,1]
	v_pk_add_f32 v[10:11], v[68:69], v[10:11] op_sel_hi:[0,1]
	v_pk_add_f32 v[12:13], v[78:79], v[12:13]
	s_mov_b32 s28, s5
	s_mov_b32 s29, s1
	v_pk_mul_f32 v[78:79], v[50:51], s[30:31] op_sel:[1,0]
	v_pk_add_f32 v[10:11], v[14:15], v[10:11]
	v_pk_fma_f32 v[14:15], v[56:57], s[22:23], v[22:23] op_sel_hi:[0,1,1] neg_lo:[0,0,1] neg_hi:[0,0,1]
	v_pk_fma_f32 v[80:81], v[52:53], s[28:29], v[78:79] op_sel_hi:[0,1,1]
	s_mov_b32 s36, s27
	s_mov_b32 s37, s2
	v_pk_add_f32 v[10:11], v[14:15], v[10:11]
	v_pk_fma_f32 v[14:15], v[64:65], s[18:19], v[76:77] op_sel_hi:[0,1,1] neg_lo:[0,0,1] neg_hi:[0,0,1]
	v_pk_add_f32 v[12:13], v[80:81], v[12:13]
	s_mov_b32 s34, s19
	s_mov_b32 s35, s3
	v_pk_mul_f32 v[80:81], v[46:47], s[36:37] op_sel:[1,0]
	v_pk_add_f32 v[10:11], v[14:15], v[10:11]
	v_pk_fma_f32 v[14:15], v[52:53], s[28:29], v[78:79] op_sel_hi:[0,1,1] neg_lo:[0,0,1] neg_hi:[0,0,1]
	v_pk_add_f32 v[10:11], v[14:15], v[10:11]
	v_pk_fma_f32 v[14:15], v[48:49], s[34:35], v[80:81] op_sel_hi:[0,1,1] neg_lo:[0,0,1] neg_hi:[0,0,1]
	s_mov_b32 s20, s12
	s_mov_b32 s21, s2
	v_pk_add_f32 v[14:15], v[14:15], v[10:11]
	s_mov_b32 s24, s26
	s_mov_b32 s25, s30
	;; [unrolled: 1-line block ×3, first 2 shown]
	v_pk_mul_f32 v[10:11], v[72:73], s[20:21] op_sel:[1,0]
	s_mov_b32 s22, s3
	s_mov_b32 s23, s5
	v_pk_fma_f32 v[22:23], v[70:71], s[2:3], v[10:11] op_sel:[1,0,0]
	v_pk_mul_f32 v[76:77], v[44:45], s[24:25] op_sel:[1,0]
	v_pk_add_f32 v[22:23], v[68:69], v[22:23] op_sel_hi:[0,1]
	v_pk_fma_f32 v[78:79], v[42:43], s[22:23], v[76:77] op_sel_hi:[0,1,1]
	s_mov_b32 s24, s27
	s_mov_b32 s25, s0
	v_pk_add_f32 v[22:23], v[78:79], v[22:23]
	s_mov_b32 s20, s19
	s_mov_b32 s21, s1
	v_pk_mul_f32 v[78:79], v[54:55], s[24:25] op_sel:[1,0]
	v_pk_fma_f32 v[82:83], v[48:49], s[34:35], v[80:81] op_sel_hi:[0,1,1]
	v_pk_fma_f32 v[80:81], v[56:57], s[20:21], v[78:79] op_sel_hi:[0,1,1]
	s_mov_b32 s14, s5
	s_mov_b32 s5, 0x3e750f2a
	v_pk_add_f32 v[22:23], v[80:81], v[22:23]
	v_pk_mul_f32 v[80:81], v[62:63], s[4:5] op_sel:[1,0]
	v_pk_fma_f32 v[10:11], v[70:71], s[2:3], v[10:11] op_sel:[1,0,0] neg_lo:[0,0,1] neg_hi:[0,0,1]
	v_pk_add_f32 v[12:13], v[82:83], v[12:13]
	v_pk_fma_f32 v[82:83], v[64:65], s[14:15], v[80:81] op_sel_hi:[0,1,1]
	s_mov_b32 s26, s5
	v_pk_fma_f32 v[76:77], v[42:43], s[22:23], v[76:77] op_sel_hi:[0,1,1] neg_lo:[0,0,1] neg_hi:[0,0,1]
	v_pk_add_f32 v[10:11], v[68:69], v[10:11] op_sel_hi:[0,1]
	v_pk_add_f32 v[22:23], v[82:83], v[22:23]
	s_mov_b32 s18, s15
	v_pk_mul_f32 v[82:83], v[50:51], s[26:27] op_sel:[1,0]
	v_pk_add_f32 v[10:11], v[76:77], v[10:11]
	v_pk_fma_f32 v[76:77], v[56:57], s[20:21], v[78:79] op_sel_hi:[0,1,1] neg_lo:[0,0,1] neg_hi:[0,0,1]
	v_pk_fma_f32 v[84:85], v[52:53], s[18:19], v[82:83] op_sel_hi:[0,1,1]
	s_mov_b32 s0, 0x3f52af12
	s_mov_b32 s4, s1
	s_mov_b32 s1, s12
	v_pk_add_f32 v[10:11], v[76:77], v[10:11]
	v_pk_fma_f32 v[76:77], v[64:65], s[14:15], v[80:81] op_sel_hi:[0,1,1] neg_lo:[0,0,1] neg_hi:[0,0,1]
	v_pk_add_f32 v[22:23], v[84:85], v[22:23]
	s_mov_b32 s5, s13
	v_pk_mul_f32 v[84:85], v[46:47], s[0:1] op_sel:[1,0]
	v_pk_add_f32 v[10:11], v[76:77], v[10:11]
	v_pk_fma_f32 v[76:77], v[52:53], s[18:19], v[82:83] op_sel_hi:[0,1,1] neg_lo:[0,0,1] neg_hi:[0,0,1]
	v_pk_add_f32 v[10:11], v[76:77], v[10:11]
	v_pk_fma_f32 v[76:77], v[48:49], s[4:5], v[84:85] op_sel_hi:[0,1,1] neg_lo:[0,0,1] neg_hi:[0,0,1]
	v_mul_f32_e32 v20, 0x3eedf032, v45
	v_mul_f32_e32 v28, 0x3f62ad3f, v42
	v_pk_add_f32 v[10:11], v[76:77], v[10:11]
	v_pk_add_f32 v[44:45], v[28:29], v[20:21]
	v_pk_add_f32 v[76:77], v[28:29], v[20:21] neg_lo:[0,1] neg_hi:[0,1]
	v_mul_f32_e32 v20, 0xbf3f9e67, v56
	v_mul_f32_e32 v28, 0xbf29c268, v55
	v_pk_add_f32 v[54:55], v[20:21], v[28:29]
	v_pk_add_f32 v[56:57], v[20:21], v[28:29] neg_lo:[0,1] neg_hi:[0,1]
	v_mul_f32_e32 v20, 0x3f116cb1, v64
	v_mul_f32_e32 v28, 0x3f52af12, v63
	v_mov_b32_e32 v55, v56
	v_pk_add_f32 v[56:57], v[20:21], v[28:29]
	v_pk_add_f32 v[62:63], v[20:21], v[28:29] neg_lo:[0,1] neg_hi:[0,1]
	v_mul_f32_e32 v20, 0xbe750f2a, v73
	v_mul_f32_e32 v28, 0xbf788fa5, v71
	v_mov_b32_e32 v57, v62
	v_pk_add_f32 v[62:63], v[28:29], v[20:21]
	v_pk_add_f32 v[64:65], v[28:29], v[20:21] neg_lo:[0,1] neg_hi:[0,1]
	v_sub_f32_e32 v20, v33, v32
	v_sub_f32_e32 v28, v39, v38
	v_add_f32_e32 v20, v20, v30
	v_mov_b32_e32 v63, v64
	v_mov_b32_e32 v45, v76
	v_sub_f32_e32 v32, v59, v58
	v_add_f32_e32 v20, v28, v20
	v_pk_add_f32 v[38:39], v[68:69], v[62:63] op_sel_hi:[0,1]
	v_add_f32_e32 v20, v32, v20
	v_sub_f32_e32 v28, v67, v66
	v_pk_add_f32 v[38:39], v[44:45], v[38:39]
	v_add_f32_e32 v30, v28, v20
	v_mul_f32_e32 v20, 0xbeb58ec6, v52
	v_mul_f32_e32 v28, 0xbf6f5d39, v51
	v_pk_add_f32 v[38:39], v[54:55], v[38:39]
	v_sub_f32_e32 v32, v75, v74
	v_pk_add_f32 v[38:39], v[56:57], v[38:39]
	v_pk_add_f32 v[54:55], v[20:21], v[28:29]
	v_pk_add_f32 v[56:57], v[20:21], v[28:29] neg_lo:[0,1] neg_hi:[0,1]
	v_add_f32_e32 v32, v32, v30
	v_mul_f32_e32 v30, 0x3df6dbef, v48
	v_mul_f32_e32 v44, 0x3f7e222b, v47
	v_mov_b32_e32 v55, v56
	v_pk_add_f32 v[38:39], v[54:55], v[38:39]
	v_pk_add_f32 v[54:55], v[30:31], v[44:45]
	v_pk_add_f32 v[44:45], v[30:31], v[44:45] neg_lo:[0,1] neg_hi:[0,1]
	s_movk_i32 s0, 0x4f
	v_pk_fma_f32 v[86:87], v[48:49], s[4:5], v[84:85] op_sel_hi:[0,1,1]
	v_mov_b32_e32 v55, v44
	v_cmp_lt_u32_e64 s[2:3], s0, v60
	s_movk_i32 s0, 0x50
	v_pk_add_f32 v[22:23], v[86:87], v[22:23]
	v_pk_add_f32 v[38:39], v[54:55], v[38:39]
	v_cmp_gt_u32_e64 s[0:1], s0, v60
	v_mad_u32_u24 v55, v60, 52, 0
	s_and_saveexec_b64 s[4:5], s[0:1]
	s_cbranch_execz .LBB0_15
; %bb.14:
	ds_write2_b32 v55, v8, v9 offset1:1
	ds_write2_b32 v55, v12, v13 offset0:2 offset1:3
	ds_write2_b32 v55, v22, v23 offset0:4 offset1:5
	;; [unrolled: 1-line block ×4, first 2 shown]
	v_mov_b32_e32 v20, v15
	v_mov_b32_e32 v33, v14
	ds_write2_b32 v55, v15, v14 offset0:10 offset1:11
	ds_write_b32 v55, v32 offset:48
.LBB0_15:
	s_or_b64 exec, exec, s[4:5]
	s_movk_i32 s0, 0x41
	v_cmp_gt_u32_e64 s[0:1], s0, v60
	v_lshl_add_u32 v54, v60, 2, 0
	s_waitcnt lgkmcnt(0)
	s_barrier
	s_waitcnt lgkmcnt(0)
                                        ; implicit-def: $vgpr44
	s_and_saveexec_b64 s[4:5], s[0:1]
	s_cbranch_execz .LBB0_17
; %bb.16:
	v_add_u32_e32 v10, 0x400, v54
	ds_read2_b32 v[8:9], v54 offset1:65
	ds_read2_b32 v[12:13], v54 offset0:130 offset1:195
	ds_read2_b32 v[22:23], v10 offset0:4 offset1:69
	;; [unrolled: 1-line block ×3, first 2 shown]
	v_add_u32_e32 v10, 0x800, v54
	ds_read2_b32 v[14:15], v10 offset0:8 offset1:73
	ds_read2_b32 v[56:57], v10 offset0:138 offset1:203
	v_add_u32_e32 v10, 0xc00, v54
	ds_read2_b32 v[32:33], v10 offset0:12 offset1:77
	ds_read2_b32 v[44:45], v10 offset0:142 offset1:207
	s_waitcnt lgkmcnt(3)
	v_mov_b32_e32 v10, v15
	v_mov_b32_e32 v11, v14
	s_waitcnt lgkmcnt(2)
	v_mov_b32_e32 v14, v57
	v_mov_b32_e32 v15, v56
.LBB0_17:
	s_or_b64 exec, exec, s[4:5]
	v_pk_add_f32 v[56:57], v[0:1], v[18:19]
	v_mov_b32_e32 v58, v2
	v_pk_add_f32 v[56:57], v[56:57], v[16:17]
	v_mov_b32_e32 v59, v27
	v_mov_b32_e32 v62, v37
	;; [unrolled: 1-line block ×3, first 2 shown]
	v_pk_add_f32 v[56:57], v[56:57], v[26:27]
	v_pk_add_f32 v[58:59], v[58:59], v[62:63]
	v_mov_b32_e32 v62, v40
	v_mov_b32_e32 v63, v26
	;; [unrolled: 1-line block ×4, first 2 shown]
	v_pk_add_f32 v[62:63], v[62:63], v[26:27] neg_lo:[0,1] neg_hi:[0,1]
	v_mov_b32_e32 v64, v59
	v_mov_b32_e32 v65, v63
	s_mov_b32 s19, 0xbf52af12
	s_mov_b32 s18, 0x3f116cb1
	;; [unrolled: 1-line block ×3, first 2 shown]
	v_pk_mul_f32 v[26:27], v[64:65], s[18:19]
	v_mov_b32_e32 v68, v58
	v_mov_b32_e32 v69, v62
	s_mov_b32 s15, 0x3e750f2a
	v_mov_b32_e32 v17, v26
	v_pk_mul_f32 v[70:71], v[68:69], s[14:15]
	v_pk_fma_f32 v[64:65], v[64:65], s[18:19], v[16:17]
	v_mov_b32_e32 v17, v70
	v_pk_fma_f32 v[68:69], v[68:69], s[14:15], v[16:17]
	v_mov_b32_e32 v17, v18
	v_mov_b32_e32 v40, v24
	;; [unrolled: 1-line block ×4, first 2 shown]
	v_pk_add_f32 v[16:17], v[16:17], v[40:41] neg_lo:[0,1] neg_hi:[0,1]
	s_mov_b32 s5, 0xbf3f9e67
	s_mov_b32 s4, s18
	v_pk_add_f32 v[56:57], v[56:57], v[2:3]
	v_mov_b32_e32 v2, v29
	v_mov_b32_e32 v18, v43
	;; [unrolled: 1-line block ×3, first 2 shown]
	s_mov_b32 s27, 0x3f7e222b
	s_mov_b32 s26, 0x3df6dbef
	v_pk_add_f32 v[28:29], v[56:57], v[2:3]
	v_pk_mul_f32 v[74:75], v[56:57], s[4:5]
	v_mov_b32_e32 v64, v37
	v_pk_mul_f32 v[36:37], v[18:19], s[26:27]
	v_mov_b32_e32 v29, v75
	v_mov_b32_e32 v68, v35
	v_mul_f32_e32 v35, 0xbf29c268, v17
	v_mov_b32_e32 v41, v36
	s_mov_b32 s24, 0x3eedf032
	v_mov_b32_e32 v34, v21
	v_pk_fma_f32 v[18:19], v[18:19], s[26:27], v[40:41]
	s_mov_b32 s25, 0xbe750f2a
	v_pk_add_f32 v[20:21], v[28:29], v[34:35]
	v_pk_mul_f32 v[40:41], v[16:17], s[24:25]
	v_mov_b32_e32 v76, v43
	v_mov_b32_e32 v77, v57
	s_mov_b32 s22, 0x3f62ad3f
	s_mov_b32 s23, s14
	v_pk_add_f32 v[20:21], v[20:21], v[0:1]
	v_mov_b32_e32 v18, v31
	s_mov_b32 s12, 0x3f52af12
	v_pk_add_f32 v[18:19], v[20:21], v[18:19]
	v_pk_fma_f32 v[20:21], v[76:77], s[22:23], v[40:41] neg_lo:[0,0,1] neg_hi:[0,0,1]
	s_mov_b32 s13, 0xbf29c268
	v_pk_add_f32 v[28:29], v[0:1], v[20:21]
	v_pk_fma_f32 v[30:31], v[76:77], s[22:23], v[40:41]
	v_pk_mul_f32 v[66:67], v[62:63], s[12:13]
	v_pk_add_f32 v[40:41], v[0:1], v[30:31]
	v_mov_b32_e32 v2, v29
	v_pk_fma_f32 v[72:73], v[58:59], s[4:5], v[66:67] neg_lo:[0,0,1] neg_hi:[0,0,1]
	v_pk_add_f32 v[20:21], v[20:21], v[2:3]
	v_mov_b32_e32 v2, v41
	v_pk_add_f32 v[28:29], v[30:31], v[2:3]
	v_mov_b32_e32 v2, v73
	v_pk_fma_f32 v[66:67], v[58:59], s[4:5], v[66:67]
	v_pk_add_f32 v[20:21], v[2:3], v[20:21]
	v_pk_add_f32 v[18:19], v[18:19], v[64:65]
	v_mov_b32_e32 v2, v67
	v_pk_add_f32 v[64:65], v[72:73], v[20:21]
	v_mov_b32_e32 v20, v53
	v_mov_b32_e32 v21, v50
	s_mov_b32 s20, s22
	s_mov_b32 s21, s24
	v_pk_add_f32 v[18:19], v[18:19], v[68:69]
	v_pk_add_f32 v[28:29], v[2:3], v[28:29]
	v_pk_mul_f32 v[68:69], v[20:21], s[20:21]
	v_pk_add_f32 v[66:67], v[66:67], v[28:29]
	v_mov_b32_e32 v29, v68
	v_pk_fma_f32 v[28:29], v[20:21], s[20:21], v[28:29]
	s_mov_b32 s20, 0xbeb58ec6
	v_mov_b32_e32 v28, v25
	s_mov_b32 s21, 0xbf6f5d39
	v_pk_add_f32 v[72:73], v[18:19], v[28:29]
	v_pk_mul_f32 v[18:19], v[20:21], s[20:21]
	s_mov_b32 s34, s21
	s_mov_b32 s35, s19
	v_mov_b32_e32 v2, v19
	v_mov_b32_e32 v19, v18
	s_mov_b32 s30, s20
	s_mov_b32 s31, s18
	v_pk_mul_f32 v[30:31], v[16:17], s[34:35] op_sel_hi:[0,1]
	s_mov_b32 s35, 0xbf7e222b
	s_mov_b32 s34, s25
	v_pk_fma_f32 v[76:77], v[20:21], s[20:21], v[2:3] neg_lo:[0,0,1] neg_hi:[0,0,1]
	v_pk_fma_f32 v[78:79], v[20:21], s[20:21], v[18:19]
	v_pk_mul_f32 v[28:29], v[42:43], s[30:31] op_sel:[1,0]
	v_pk_fma_f32 v[20:21], v[42:43], s[30:31], v[30:31] op_sel:[1,0,0]
	s_mov_b32 s30, s14
	s_mov_b32 s31, s26
	v_pk_mul_f32 v[80:81], v[62:63], s[34:35] op_sel:[1,0]
	v_pk_mul_f32 v[40:41], v[58:59], s[30:31] op_sel:[1,0]
	v_pk_fma_f32 v[24:25], v[58:59], s[30:31], v[80:81] op_sel:[1,0,0]
	s_mov_b32 s30, 0x3f29c268
	s_mov_b32 s31, s21
	s_mov_b32 s36, s5
	s_mov_b32 s37, s20
	v_pk_mul_f32 v[84:85], v[62:63], s[30:31] op_sel_hi:[0,1]
	s_mov_b32 s38, s27
	s_mov_b32 s39, s13
	;; [unrolled: 1-line block ×4, first 2 shown]
	v_pk_mul_f32 v[82:83], v[58:59], s[36:37] op_sel_hi:[0,1]
	v_pk_fma_f32 v[86:87], v[58:59], s[36:37], v[84:85] op_sel_hi:[0,1,1]
	s_mov_b32 s36, s26
	s_mov_b32 s37, s5
	v_pk_mul_f32 v[90:91], v[50:51], s[38:39] op_sel_hi:[0,1]
	v_pk_mul_f32 v[18:19], v[16:17], s[28:29] op_sel:[1,0]
	v_pk_mul_f32 v[88:89], v[52:53], s[36:37] op_sel:[1,0]
	v_pk_fma_f32 v[92:93], v[52:53], s[36:37], v[90:91] op_sel:[1,0,0]
	s_mov_b32 s36, s18
	s_mov_b32 s37, s22
	v_pk_fma_f32 v[96:97], v[56:57], s[36:37], v[18:19] op_sel:[1,0,0]
	s_mov_b32 s40, s35
	v_pk_add_f32 v[96:97], v[0:1], v[96:97] op_sel:[1,0]
	s_mov_b32 s41, s24
	v_pk_add_f32 v[20:21], v[20:21], v[96:97]
	s_mov_b32 s34, s21
	v_pk_add_f32 v[20:21], v[24:25], v[20:21]
	v_pk_mul_f32 v[106:107], v[62:63], s[40:41] op_sel_hi:[0,1]
	v_pk_add_f32 v[20:21], v[86:87], v[20:21]
	s_mov_b32 s40, s15
	s_mov_b32 s41, s19
	v_pk_add_f32 v[86:87], v[92:93], v[20:21]
	v_pk_mul_f32 v[92:93], v[16:17], s[34:35] op_sel:[1,0]
	s_mov_b32 s31, s25
	v_pk_mul_f32 v[112:113], v[50:51], s[40:41] op_sel_hi:[0,1]
	s_mov_b32 s40, s20
	s_mov_b32 s41, s26
	v_pk_mul_f32 v[94:95], v[56:57], s[36:37] op_sel:[1,0]
	s_mov_b32 s36, s5
	s_mov_b32 s37, s14
	v_pk_mul_f32 v[98:99], v[16:17], s[30:31] op_sel_hi:[0,1]
	s_mov_b32 s39, 0x3f6f5d39
	s_mov_b32 s38, s24
	v_pk_fma_f32 v[114:115], v[56:57], s[40:41], v[92:93] op_sel:[1,0,0]
	v_pk_mul_f32 v[96:97], v[42:43], s[36:37] op_sel:[1,0]
	v_pk_fma_f32 v[20:21], v[42:43], s[36:37], v[98:99] op_sel:[1,0,0]
	s_mov_b32 s36, s22
	s_mov_b32 s37, s20
	v_pk_mul_f32 v[102:103], v[62:63], s[38:39] op_sel:[1,0]
	v_pk_add_f32 v[114:115], v[0:1], v[114:115] op_sel:[1,0]
	v_pk_mul_f32 v[100:101], v[58:59], s[36:37] op_sel:[1,0]
	v_pk_fma_f32 v[24:25], v[58:59], s[36:37], v[102:103] op_sel:[1,0,0]
	s_mov_b32 s36, s26
	s_mov_b32 s37, s22
	v_pk_add_f32 v[20:21], v[20:21], v[114:115]
	v_pk_mul_f32 v[104:105], v[58:59], s[36:37] op_sel_hi:[0,1]
	v_pk_fma_f32 v[108:109], v[58:59], s[36:37], v[106:107] op_sel_hi:[0,1,1]
	s_mov_b32 s36, s14
	s_mov_b32 s37, s18
	v_pk_add_f32 v[20:21], v[24:25], v[20:21]
	v_pk_fma_f32 v[114:115], v[52:53], s[36:37], v[112:113] op_sel:[1,0,0]
	v_pk_add_f32 v[20:21], v[108:109], v[20:21]
	s_mov_b32 s38, s39
	s_mov_b32 s39, s15
	v_pk_mul_f32 v[110:111], v[52:53], s[36:37] op_sel:[1,0]
	v_pk_add_f32 v[24:25], v[114:115], v[20:21]
	s_mov_b32 s36, s20
	s_mov_b32 s37, s14
	v_pk_mul_f32 v[20:21], v[16:17], s[38:39] op_sel_hi:[0,1]
	s_mov_b32 s38, s15
	s_mov_b32 s39, s21
	v_pk_fma_f32 v[20:21], v[42:43], s[36:37], v[20:21] op_sel:[1,0,0]
	s_mov_b32 s36, s14
	s_mov_b32 s37, s20
	v_pk_mul_f32 v[42:43], v[62:63], s[38:39] op_sel:[1,0]
	s_mov_b32 s28, s13
	v_pk_fma_f32 v[42:43], v[58:59], s[36:37], v[42:43] op_sel:[1,0,0]
	s_mov_b32 s36, s5
	s_mov_b32 s37, s22
	v_pk_mul_f32 v[62:63], v[62:63], s[28:29] op_sel_hi:[0,1]
	v_pk_fma_f32 v[58:59], v[58:59], s[36:37], v[62:63] op_sel_hi:[0,1,1]
	s_mov_b32 s36, s26
	s_mov_b32 s19, s26
	;; [unrolled: 1-line block ×3, first 2 shown]
	v_pk_mul_f32 v[16:17], v[16:17], s[26:27] op_sel:[1,0]
	v_pk_mul_f32 v[116:117], v[56:57], s[40:41] op_sel:[1,0]
	v_pk_fma_f32 v[16:17], v[56:57], s[18:19], v[16:17] op_sel:[1,0,0]
	s_mov_b32 s34, s35
	v_pk_add_f32 v[16:17], v[0:1], v[16:17] op_sel:[1,0]
	s_mov_b32 s35, s12
	v_pk_add_f32 v[16:17], v[20:21], v[16:17]
	s_mov_b32 s37, s18
	v_pk_mul_f32 v[50:51], v[50:51], s[34:35] op_sel_hi:[0,1]
	v_pk_add_f32 v[16:17], v[42:43], v[16:17]
	v_sub_f32_e32 v18, v95, v19
	v_mov_b32_e32 v117, v75
	v_mov_b32_e32 v93, v35
	v_pk_fma_f32 v[50:51], v[52:53], s[36:37], v[50:51] op_sel:[1,0,0]
	v_pk_add_f32 v[16:17], v[58:59], v[16:17]
	v_add_f32_e32 v18, v1, v18
	v_sub_f32_e32 v19, v29, v31
	v_mov_b32_e32 v97, v36
	v_mov_b32_e32 v99, v37
	v_pk_add_f32 v[34:35], v[116:117], v[92:93] neg_lo:[0,1] neg_hi:[0,1]
	v_pk_add_f32 v[20:21], v[50:51], v[16:17]
	v_mov_b32_e32 v16, v49
	v_mov_b32_e32 v17, v46
	v_sub_f32_e32 v2, v41, v81
	v_add_f32_e32 v18, v19, v18
	v_pk_add_f32 v[36:37], v[96:97], v[98:99] neg_lo:[0,1] neg_hi:[0,1]
	v_mov_b32_e32 v101, v26
	v_mov_b32_e32 v103, v27
	v_pk_add_f32 v[0:1], v[0:1], v[34:35] op_sel:[1,0]
	v_add_f32_e32 v2, v2, v18
	v_sub_f32_e32 v18, v83, v85
	v_pk_mul_f32 v[52:53], v[16:17], s[20:21]
	v_pk_add_f32 v[26:27], v[100:101], v[102:103] neg_lo:[0,1] neg_hi:[0,1]
	v_pk_add_f32 v[0:1], v[36:37], v[0:1]
	v_pk_mul_f32 v[42:43], v[46:47], s[24:25] op_sel_hi:[0,1]
	v_add_f32_e32 v2, v18, v2
	v_sub_f32_e32 v18, v89, v91
	v_pk_add_f32 v[0:1], v[26:27], v[0:1]
	v_mov_b32_e32 v27, v52
	v_add_f32_e32 v40, v18, v2
	v_fma_f32 v41, v49, s14, -v43
	v_pk_fma_f32 v[18:19], v[48:49], s[22:23], v[42:43] op_sel:[1,0,0]
	v_pk_mul_f32 v[42:43], v[48:49], s[4:5] op_sel:[1,0]
	v_pk_mul_f32 v[50:51], v[46:47], s[12:13] op_sel_hi:[0,1]
	v_mov_b32_e32 v105, v70
	v_mov_b32_e32 v107, v71
	v_pk_fma_f32 v[16:17], v[16:17], s[20:21], v[26:27]
	s_mov_b32 s12, s29
	s_mov_b32 s13, s30
	v_pk_fma_f32 v[30:31], v[48:49], s[4:5], v[50:51] op_sel:[1,0,0]
	v_pk_add_f32 v[56:57], v[104:105], v[106:107] neg_lo:[0,1] neg_hi:[0,1]
	v_mov_b32_e32 v111, v68
	v_mov_b32_e32 v113, v69
	;; [unrolled: 1-line block ×5, first 2 shown]
	v_mul_f32_e32 v26, 0x3df6dbef, v49
	v_mul_f32_e32 v36, 0x3f7e222b, v46
	v_mov_b32_e32 v3, v66
	v_mov_b32_e32 v37, v79
	s_mov_b32 s23, s5
	v_pk_mul_f32 v[28:29], v[46:47], s[12:13] op_sel_hi:[0,1]
	v_pk_add_f32 v[58:59], v[110:111], v[112:113] neg_lo:[0,1] neg_hi:[0,1]
	v_pk_add_f32 v[0:1], v[56:57], v[0:1]
	v_pk_add_f32 v[34:35], v[42:43], v[50:51] neg_lo:[0,1] neg_hi:[0,1]
	v_pk_add_f32 v[42:43], v[2:3], v[78:79]
	v_pk_add_f32 v[2:3], v[26:27], v[36:37] neg_lo:[0,1] neg_hi:[0,1]
	v_mov_b32_e32 v65, v26
	v_mov_b32_e32 v77, v36
	v_pk_add_f32 v[18:19], v[18:19], v[86:87]
	v_pk_fma_f32 v[28:29], v[48:49], s[22:23], v[28:29] op_sel:[1,0,0]
	v_pk_add_f32 v[0:1], v[58:59], v[0:1]
	v_pk_add_f32 v[16:17], v[72:73], v[16:17]
	v_mov_b32_e32 v3, v43
	v_pk_add_f32 v[36:37], v[64:65], v[76:77]
	s_waitcnt lgkmcnt(0)
	s_barrier
	s_and_saveexec_b64 s[4:5], s[2:3]
	s_xor_b64 s[2:3], exec, s[4:5]
; %bb.18:
                                        ; implicit-def: $vgpr55
; %bb.19:
	s_or_saveexec_b64 s[2:3], s[2:3]
	v_add_f32_e32 v27, v41, v40
	v_pk_add_f32 v[20:21], v[28:29], v[20:21]
	v_pk_add_f32 v[30:31], v[30:31], v[24:25]
	;; [unrolled: 1-line block ×4, first 2 shown]
	s_xor_b64 exec, exec, s[2:3]
	s_cbranch_execz .LBB0_21
; %bb.20:
	ds_write2_b32 v55, v16, v27 offset1:1
	ds_write2_b32 v55, v20, v21 offset0:2 offset1:3
	ds_write2_b32 v55, v24, v25 offset0:4 offset1:5
	;; [unrolled: 1-line block ×5, first 2 shown]
	ds_write_b32 v55, v19 offset:48
.LBB0_21:
	s_or_b64 exec, exec, s[2:3]
	s_waitcnt lgkmcnt(0)
	s_barrier
	s_waitcnt lgkmcnt(0)
                                        ; implicit-def: $vgpr35
                                        ; implicit-def: $vgpr36
	s_and_saveexec_b64 s[2:3], s[0:1]
	s_cbranch_execz .LBB0_23
; %bb.22:
	v_add_u32_e32 v0, 0x400, v54
	v_add_u32_e32 v2, 0x800, v54
	ds_read2_b32 v[26:27], v54 offset1:65
	ds_read2_b32 v[20:21], v54 offset0:130 offset1:195
	ds_read2_b32 v[24:25], v0 offset0:4 offset1:69
	;; [unrolled: 1-line block ×5, first 2 shown]
	v_add_u32_e32 v16, 0xc00, v54
	ds_read2_b32 v[34:35], v16 offset0:12 offset1:77
	ds_read2_b32 v[36:37], v16 offset0:142 offset1:207
	s_waitcnt lgkmcnt(7)
	v_mov_b32_e32 v16, v26
	s_waitcnt lgkmcnt(3)
	v_mov_b32_e32 v17, v0
	v_mov_b32_e32 v30, v1
	s_waitcnt lgkmcnt(2)
	v_mov_b32_e32 v31, v2
	;; [unrolled: 3-line block ×3, first 2 shown]
.LBB0_23:
	s_or_b64 exec, exec, s[2:3]
	s_movk_i32 s2, 0x4f
	v_mul_lo_u16_sdwa v0, v60, s2 dst_sel:DWORD dst_unused:UNUSED_PAD src0_sel:BYTE_0 src1_sel:DWORD
	v_lshrrev_b16_e32 v26, 10, v0
	v_mul_lo_u16_e32 v0, 13, v26
	v_sub_u16_e32 v34, v60, v0
	v_mov_b32_e32 v0, 15
	v_mul_u32_u24_sdwa v0, v34, v0 dst_sel:DWORD dst_unused:UNUSED_PAD src0_sel:BYTE_0 src1_sel:DWORD
	v_lshlrev_b32_e32 v40, 3, v0
	global_load_dwordx4 v[46:49], v40, s[8:9]
	global_load_dwordx4 v[50:53], v40, s[8:9] offset:16
	global_load_dwordx4 v[56:59], v40, s[8:9] offset:32
	;; [unrolled: 1-line block ×6, first 2 shown]
	global_load_dwordx2 v[42:43], v40, s[8:9] offset:112
	s_waitcnt lgkmcnt(0)
	s_barrier
	s_waitcnt vmcnt(7)
	v_mul_f32_e32 v41, v27, v47
	s_waitcnt vmcnt(6)
	v_mul_f32_e32 v74, v21, v51
	v_mul_f32_e32 v47, v9, v47
	s_waitcnt vmcnt(4)
	v_mul_f32_e32 v77, v29, v1
	s_waitcnt vmcnt(3)
	v_mul_f32_e32 v78, v30, v63
	s_waitcnt vmcnt(2)
	v_mul_f32_e32 v80, v18, v67
	v_mul_f32_e32 v55, v20, v49
	s_waitcnt vmcnt(0)
	v_mul_f32_e32 v84, v37, v43
	v_mul_f32_e32 v49, v12, v49
	;; [unrolled: 1-line block ×20, first 2 shown]
	v_fmac_f32_e32 v41, v9, v46
	v_fmac_f32_e32 v74, v13, v50
	v_fmac_f32_e32 v77, v39, v0
	v_fmac_f32_e32 v78, v10, v62
	v_fmac_f32_e32 v80, v14, v66
	v_fmac_f32_e32 v84, v45, v42
	v_mul_f32_e32 v53, v22, v53
	v_fma_f32 v27, v27, v46, -v47
	v_fmac_f32_e32 v55, v12, v48
	v_fma_f32 v9, v20, v48, -v49
	v_fma_f32 v20, v21, v50, -v51
	v_fmac_f32_e32 v40, v22, v52
	v_fmac_f32_e32 v75, v23, v56
	v_fma_f32 v21, v25, v56, -v57
	v_fmac_f32_e32 v76, v38, v58
	v_fma_f32 v22, v28, v58, -v59
	v_fma_f32 v1, v29, v0, -v1
	;; [unrolled: 1-line block ×3, first 2 shown]
	v_fmac_f32_e32 v79, v15, v64
	v_fma_f32 v10, v31, v64, -v65
	v_fma_f32 v18, v18, v66, -v67
	v_fmac_f32_e32 v81, v32, v68
	v_fma_f32 v14, v19, v68, -v69
	v_fmac_f32_e32 v82, v33, v70
	;; [unrolled: 2-line block ×3, first 2 shown]
	v_fma_f32 v19, v36, v72, -v73
	v_fma_f32 v23, v37, v42, -v43
	v_sub_f32_e32 v28, v41, v78
	v_sub_f32_e32 v32, v74, v80
	;; [unrolled: 1-line block ×3, first 2 shown]
	v_fma_f32 v12, v24, v52, -v53
	v_sub_f32_e32 v24, v55, v79
	v_sub_f32_e32 v10, v9, v10
	v_sub_f32_e32 v25, v76, v83
	v_sub_f32_e32 v19, v22, v19
	v_sub_f32_e32 v29, v27, v0
	v_sub_f32_e32 v30, v75, v82
	v_sub_f32_e32 v31, v21, v15
	v_fma_f32 v33, v41, 2.0, -v28
	v_sub_f32_e32 v37, v20, v18
	v_fma_f32 v38, v74, 2.0, -v32
	v_sub_f32_e32 v23, v1, v23
	v_fma_f32 v41, v77, 2.0, -v39
	v_fma_f32 v0, v55, 2.0, -v24
	;; [unrolled: 1-line block ×10, first 2 shown]
	v_add_f32_e32 v43, v28, v31
	v_sub_f32_e32 v44, v29, v30
	v_sub_f32_e32 v41, v38, v41
	;; [unrolled: 1-line block ×5, first 2 shown]
	v_add_f32_e32 v9, v24, v19
	v_sub_f32_e32 v22, v10, v25
	v_sub_f32_e32 v25, v33, v35
	;; [unrolled: 1-line block ×3, first 2 shown]
	v_fma_f32 v31, v28, 2.0, -v43
	v_fma_f32 v36, v29, 2.0, -v44
	v_sub_f32_e32 v42, v20, v42
	v_fma_f32 v28, v38, 2.0, -v41
	v_add_f32_e32 v38, v32, v23
	v_fma_f32 v37, v37, 2.0, -v39
	v_fma_f32 v24, v24, 2.0, -v9
	;; [unrolled: 1-line block ×7, first 2 shown]
	v_mul_f32_e32 v27, 0x3f3504f3, v9
	v_fmamk_f32 v23, v37, 0xbf3504f3, v36
	v_add_f32_e32 v9, v25, v42
	v_mul_f32_e32 v30, 0x3f3504f3, v24
	v_mul_f32_e32 v33, 0x3f3504f3, v10
	;; [unrolled: 1-line block ×3, first 2 shown]
	v_sub_f32_e32 v22, v1, v28
	v_sub_f32_e32 v28, v19, v20
	v_fmamk_f32 v20, v32, 0xbf3504f3, v31
	v_fmac_f32_e32 v23, 0xbf3504f3, v32
	v_sub_f32_e32 v10, v35, v41
	v_fma_f32 v32, v25, 2.0, -v9
	v_fmamk_f32 v24, v38, 0x3f3504f3, v43
	v_fmamk_f32 v25, v39, 0x3f3504f3, v44
	v_fmac_f32_e32 v20, 0x3f3504f3, v37
	v_fma_f32 v35, v35, 2.0, -v10
	v_fmac_f32_e32 v24, 0x3f3504f3, v39
	v_fmac_f32_e32 v25, 0xbf3504f3, v38
	v_sub_f32_e32 v13, v40, v81
	v_sub_f32_e32 v14, v12, v14
	v_fma_f32 v31, v31, 2.0, -v20
	v_fma_f32 v36, v36, 2.0, -v23
	;; [unrolled: 1-line block ×4, first 2 shown]
	v_mul_f32_e32 v39, 0x3f3504f3, v32
	v_mul_f32_e32 v41, 0x3f3504f3, v35
	;; [unrolled: 1-line block ×4, first 2 shown]
	s_and_saveexec_b64 s[2:3], s[0:1]
	s_cbranch_execz .LBB0_25
; %bb.24:
	v_mul_f32_e32 v9, v17, v3
	v_fmac_f32_e32 v9, v11, v2
	v_sub_f32_e32 v9, v8, v9
	v_add_f32_e32 v10, v9, v14
	v_fma_f32 v8, v8, 2.0, -v9
	v_fma_f32 v40, v40, 2.0, -v13
	;; [unrolled: 1-line block ×3, first 2 shown]
	v_sub_f32_e32 v40, v8, v40
	v_sub_f32_e32 v48, v9, v30
	v_add_f32_e32 v42, v10, v27
	v_add_f32_e32 v48, v33, v48
	v_fma_f32 v8, v8, 2.0, -v40
	v_fma_f32 v0, v0, 2.0, -v18
	v_add_f32_e32 v42, v29, v42
	v_add_f32_e32 v45, v40, v21
	v_fmamk_f32 v49, v20, 0x3ec3ef15, v48
	v_sub_f32_e32 v0, v8, v0
	v_fmamk_f32 v43, v24, 0x3f6c835e, v42
	v_add_f32_e32 v46, v45, v32
	v_fmac_f32_e32 v49, 0x3f6c835e, v23
	v_add_f32_e32 v51, v0, v28
	v_fma_f32 v9, v9, 2.0, -v48
	v_fmac_f32_e32 v43, 0x3ec3ef15, v25
	v_add_f32_e32 v46, v35, v46
	v_fma_f32 v50, v48, 2.0, -v49
	v_fma_f32 v52, v0, 2.0, -v51
	;; [unrolled: 1-line block ×4, first 2 shown]
	v_fmamk_f32 v48, v31, 0xbf6c835e, v9
	v_fma_f32 v0, v8, 2.0, -v0
	v_fma_f32 v1, v1, 2.0, -v22
	v_mul_u32_u24_e32 v8, 0xd0, v26
	v_fma_f32 v44, v42, 2.0, -v43
	v_fma_f32 v47, v45, 2.0, -v46
	v_fmamk_f32 v42, v37, 0xbec3ef15, v10
	v_sub_f32_e32 v45, v40, v39
	v_fmac_f32_e32 v48, 0x3ec3ef15, v36
	v_sub_f32_e32 v1, v0, v1
	v_or_b32_sdwa v8, v8, v34 dst_sel:DWORD dst_unused:UNUSED_PAD src0_sel:DWORD src1_sel:BYTE_0
	v_fmac_f32_e32 v42, 0x3f6c835e, v38
	v_add_f32_e32 v45, v41, v45
	v_fma_f32 v9, v9, 2.0, -v48
	v_fma_f32 v0, v0, 2.0, -v1
	v_lshl_add_u32 v8, v8, 2, 0
	v_fma_f32 v10, v10, 2.0, -v42
	v_fma_f32 v40, v40, 2.0, -v45
	ds_write2_b32 v8, v0, v9 offset1:13
	ds_write2_b32 v8, v40, v10 offset0:26 offset1:39
	ds_write2_b32 v8, v52, v50 offset0:52 offset1:65
	;; [unrolled: 1-line block ×7, first 2 shown]
.LBB0_25:
	s_or_b64 exec, exec, s[2:3]
	v_add_u32_e32 v8, 0x600, v54
	s_waitcnt lgkmcnt(0)
	s_barrier
	ds_read2_b32 v[0:1], v54 offset1:208
	ds_read2_b32 v[8:9], v8 offset0:32 offset1:240
	ds_read_b32 v10, v54 offset:3328
	s_waitcnt lgkmcnt(0)
	s_barrier
	s_and_saveexec_b64 s[2:3], s[0:1]
	s_cbranch_execz .LBB0_27
; %bb.26:
	v_mul_f32_e32 v3, v11, v3
	v_fma_f32 v2, v17, v2, -v3
	v_sub_f32_e32 v2, v16, v2
	v_fma_f32 v11, v12, 2.0, -v14
	v_sub_f32_e32 v12, v2, v13
	v_fma_f32 v3, v16, 2.0, -v2
	v_fma_f32 v2, v2, 2.0, -v12
	v_sub_f32_e32 v11, v3, v11
	v_sub_f32_e32 v14, v2, v33
	v_add_f32_e32 v16, v12, v29
	v_fma_f32 v3, v3, 2.0, -v11
	v_fma_f32 v13, v15, 2.0, -v21
	v_sub_f32_e32 v14, v14, v30
	v_sub_f32_e32 v16, v16, v27
	;; [unrolled: 1-line block ×3, first 2 shown]
	v_fma_f32 v2, v2, 2.0, -v14
	v_sub_f32_e32 v15, v11, v18
	v_fmamk_f32 v25, v25, 0x3f6c835e, v16
	v_fma_f32 v3, v3, 2.0, -v13
	v_fma_f32 v11, v11, 2.0, -v15
	;; [unrolled: 1-line block ×4, first 2 shown]
	v_fmamk_f32 v18, v36, 0xbf6c835e, v2
	v_fmamk_f32 v23, v23, 0x3ec3ef15, v14
	v_fmac_f32_e32 v25, 0xbec3ef15, v24
	v_mul_u32_u24_e32 v24, 0xd0, v26
	v_sub_f32_e32 v17, v3, v17
	v_fmac_f32_e32 v18, 0xbec3ef15, v31
	v_sub_f32_e32 v19, v11, v41
	v_fmamk_f32 v21, v38, 0xbec3ef15, v12
	v_fmac_f32_e32 v23, 0xbf6c835e, v20
	v_add_f32_e32 v20, v15, v35
	v_or_b32_sdwa v24, v24, v34 dst_sel:DWORD dst_unused:UNUSED_PAD src0_sel:DWORD src1_sel:BYTE_0
	v_fma_f32 v3, v3, 2.0, -v17
	v_fma_f32 v2, v2, 2.0, -v18
	v_sub_f32_e32 v19, v19, v39
	v_fmac_f32_e32 v21, 0xbf6c835e, v37
	v_sub_f32_e32 v22, v13, v22
	v_sub_f32_e32 v20, v20, v32
	v_lshl_add_u32 v24, v24, 2, 0
	v_fma_f32 v11, v11, 2.0, -v19
	v_fma_f32 v12, v12, 2.0, -v21
	;; [unrolled: 1-line block ×6, first 2 shown]
	ds_write2_b32 v24, v3, v2 offset1:13
	ds_write2_b32 v24, v11, v12 offset0:26 offset1:39
	ds_write2_b32 v24, v13, v14 offset0:52 offset1:65
	;; [unrolled: 1-line block ×7, first 2 shown]
.LBB0_27:
	s_or_b64 exec, exec, s[2:3]
	s_waitcnt lgkmcnt(0)
	s_barrier
	s_and_saveexec_b64 s[0:1], vcc
	s_cbranch_execz .LBB0_29
; %bb.28:
	v_lshlrev_b32_e32 v2, 2, v60
	v_mov_b32_e32 v3, 0
	v_lshl_add_u64 v[2:3], v[2:3], 3, s[8:9]
	global_load_dwordx4 v[12:15], v[2:3], off offset:1560
	global_load_dwordx4 v[16:19], v[2:3], off offset:1576
	v_add_u32_e32 v25, 0x600, v54
	v_mul_lo_u32 v11, s11, v6
	v_mul_lo_u32 v21, s10, v7
	v_mad_u64_u32 v[2:3], s[0:1], s10, v6, 0
	ds_read2_b32 v[6:7], v54 offset1:208
	v_mad_u64_u32 v[22:23], s[0:1], s16, v61, 0
	v_add_u32_e32 v29, 0x1a0, v61
	ds_read2_b32 v[32:33], v25 offset0:32 offset1:240
	ds_read_b32 v20, v54 offset:3328
	v_mov_b32_e32 v34, v23
	v_mad_u64_u32 v[38:39], s[4:5], s16, v29, 0
	v_add_u32_e32 v47, 0x340, v61
	v_add3_u32 v3, v3, v21, v11
	v_mad_u64_u32 v[34:35], s[4:5], s17, v61, v[34:35]
	v_mov_b32_e32 v46, v39
	v_lshl_add_u64 v[2:3], v[2:3], 3, s[6:7]
	v_mov_b32_e32 v23, v34
	v_mad_u64_u32 v[34:35], s[4:5], s17, v29, v[46:47]
	v_add_u32_e32 v27, 0xd0, v61
	v_lshl_add_u64 v[2:3], v[4:5], 3, v[2:3]
	v_mov_b32_e32 v39, v34
	v_mov_b32_e32 v24, v1
	;; [unrolled: 1-line block ×3, first 2 shown]
	v_mad_u64_u32 v[36:37], s[4:5], s16, v27, 0
	v_lshl_add_u64 v[34:35], v[38:39], 3, v[2:3]
	s_waitcnt lgkmcnt(2)
	v_mov_b32_e32 v38, v7
	v_mov_b32_e32 v1, v6
	s_waitcnt lgkmcnt(1)
	v_mov_b32_e32 v6, v33
	v_add_u32_e32 v31, 0x270, v61
	v_mov_b32_e32 v28, v9
	v_mov_b32_e32 v30, v9
	;; [unrolled: 1-line block ×3, first 2 shown]
	v_mad_u64_u32 v[4:5], s[4:5], s17, v27, v[44:45]
	v_mad_u64_u32 v[40:41], s[4:5], s16, v31, 0
	;; [unrolled: 1-line block ×3, first 2 shown]
	v_mov_b32_e32 v48, v41
	v_mov_b32_e32 v50, v43
	s_mov_b32 s2, 0x3f737871
	v_mad_u64_u32 v[44:45], s[4:5], s17, v31, v[48:49]
	v_mad_u64_u32 v[46:47], s[4:5], s17, v47, v[50:51]
	s_mov_b32 s4, 0x3f167918
	s_mov_b32 s0, 0x3e9e377a
	v_mov_b32_e32 v37, v4
	v_lshl_add_u64 v[22:23], v[22:23], 3, v[2:3]
	v_lshl_add_u64 v[4:5], v[36:37], 3, v[2:3]
	v_mov_b32_e32 v41, v44
	v_mov_b32_e32 v43, v46
	v_lshl_add_u64 v[36:37], v[40:41], 3, v[2:3]
	v_lshl_add_u64 v[2:3], v[42:43], 3, v[2:3]
	s_waitcnt vmcnt(1)
	v_pk_mul_f32 v[38:39], v[38:39], v[12:13] op_sel_hi:[0,1]
	s_waitcnt vmcnt(0) lgkmcnt(0)
	v_pk_mul_f32 v[20:21], v[20:21], v[18:19] op_sel_hi:[0,1]
	v_pk_mul_f32 v[32:33], v[32:33], v[14:15] op_sel_hi:[0,1]
	v_pk_mul_f32 v[6:7], v[6:7], v[16:17] op_sel_hi:[0,1]
	v_pk_fma_f32 v[24:25], v[24:25], v[12:13], v[38:39] op_sel:[0,0,1] op_sel_hi:[1,1,0]
	v_pk_fma_f32 v[12:13], v[26:27], v[12:13], v[38:39] op_sel:[0,0,1] op_sel_hi:[0,1,0] neg_lo:[1,0,0] neg_hi:[1,0,0]
	v_pk_fma_f32 v[26:27], v[10:11], v[18:19], v[20:21] op_sel:[0,0,1] op_sel_hi:[1,1,0]
	v_pk_fma_f32 v[10:11], v[10:11], v[18:19], v[20:21] op_sel:[0,0,1] op_sel_hi:[0,1,0] neg_lo:[1,0,0] neg_hi:[1,0,0]
	;; [unrolled: 2-line block ×4, first 2 shown]
	v_mov_b32_e32 v25, v13
	v_mov_b32_e32 v27, v11
	;; [unrolled: 1-line block ×4, first 2 shown]
	v_pk_add_f32 v[6:7], v[24:25], v[18:19] neg_lo:[0,1] neg_hi:[0,1]
	v_pk_add_f32 v[8:9], v[26:27], v[14:15] neg_lo:[0,1] neg_hi:[0,1]
	v_pk_add_f32 v[10:11], v[18:19], v[14:15]
	v_pk_add_f32 v[12:13], v[24:25], v[26:27] neg_lo:[0,1] neg_hi:[0,1]
	v_pk_add_f32 v[6:7], v[6:7], v[8:9]
	v_pk_fma_f32 v[8:9], v[10:11], 0.5, v[0:1] op_sel_hi:[1,0,1] neg_lo:[1,0,0] neg_hi:[1,0,0]
	v_pk_add_f32 v[16:17], v[18:19], v[14:15] neg_lo:[0,1] neg_hi:[0,1]
	v_pk_fma_f32 v[10:11], v[12:13], s[2:3], v[8:9] op_sel:[1,0,0] op_sel_hi:[0,0,1]
	v_pk_fma_f32 v[8:9], v[12:13], s[2:3], v[8:9] op_sel:[1,0,0] op_sel_hi:[0,0,1] neg_lo:[1,0,0] neg_hi:[1,0,0]
	v_pk_add_f32 v[28:29], v[0:1], v[24:25]
	v_pk_fma_f32 v[8:9], v[16:17], s[4:5], v[8:9] op_sel:[1,0,0] op_sel_hi:[0,0,1] neg_lo:[1,0,0] neg_hi:[1,0,0]
	v_pk_fma_f32 v[10:11], v[16:17], s[4:5], v[10:11] op_sel:[1,0,0] op_sel_hi:[0,0,1]
	v_pk_add_f32 v[28:29], v[28:29], v[18:19]
	v_mov_b32_e32 v20, v10
	v_mov_b32_e32 v21, v9
	v_pk_add_f32 v[28:29], v[28:29], v[14:15]
	v_mov_b32_e32 v9, v11
	v_pk_fma_f32 v[20:21], v[6:7], s[0:1], v[20:21] op_sel_hi:[1,0,1]
	v_pk_add_f32 v[28:29], v[26:27], v[28:29]
	v_pk_fma_f32 v[6:7], v[6:7], s[0:1], v[8:9] op_sel_hi:[1,0,1]
	global_store_dwordx2 v[22:23], v[28:29], off
	global_store_dwordx2 v[4:5], v[6:7], off
	v_pk_add_f32 v[4:5], v[18:19], v[24:25] neg_lo:[0,1] neg_hi:[0,1]
	v_pk_add_f32 v[6:7], v[14:15], v[26:27] neg_lo:[0,1] neg_hi:[0,1]
	s_nop 0
	v_pk_add_f32 v[4:5], v[4:5], v[6:7]
	v_pk_add_f32 v[6:7], v[24:25], v[26:27]
	s_nop 0
	v_pk_fma_f32 v[0:1], v[6:7], 0.5, v[0:1] op_sel_hi:[1,0,1] neg_lo:[1,0,0] neg_hi:[1,0,0]
	s_nop 0
	v_pk_fma_f32 v[6:7], v[16:17], s[2:3], v[0:1] op_sel:[1,0,0] op_sel_hi:[0,0,1] neg_lo:[1,0,0] neg_hi:[1,0,0]
	v_pk_fma_f32 v[0:1], v[16:17], s[2:3], v[0:1] op_sel:[1,0,0] op_sel_hi:[0,0,1]
	v_pk_fma_f32 v[0:1], v[12:13], s[4:5], v[0:1] op_sel:[1,0,0] op_sel_hi:[0,0,1] neg_lo:[1,0,0] neg_hi:[1,0,0]
	v_pk_fma_f32 v[6:7], v[12:13], s[4:5], v[6:7] op_sel:[1,0,0] op_sel_hi:[0,0,1]
	v_mov_b32_e32 v9, v1
	v_mov_b32_e32 v1, v7
	;; [unrolled: 1-line block ×3, first 2 shown]
	v_pk_fma_f32 v[0:1], v[4:5], s[0:1], v[0:1] op_sel_hi:[1,0,1]
	v_pk_fma_f32 v[8:9], v[4:5], s[0:1], v[8:9] op_sel_hi:[1,0,1]
	global_store_dwordx2 v[34:35], v[0:1], off
	global_store_dwordx2 v[36:37], v[8:9], off
	;; [unrolled: 1-line block ×3, first 2 shown]
.LBB0_29:
	s_endpgm
	.section	.rodata,"a",@progbits
	.p2align	6, 0x0
	.amdhsa_kernel fft_rtc_back_len1040_factors_13_16_5_wgs_208_tpt_208_halfLds_sp_op_CI_CI_sbrr_dirReg
		.amdhsa_group_segment_fixed_size 0
		.amdhsa_private_segment_fixed_size 0
		.amdhsa_kernarg_size 104
		.amdhsa_user_sgpr_count 2
		.amdhsa_user_sgpr_dispatch_ptr 0
		.amdhsa_user_sgpr_queue_ptr 0
		.amdhsa_user_sgpr_kernarg_segment_ptr 1
		.amdhsa_user_sgpr_dispatch_id 0
		.amdhsa_user_sgpr_kernarg_preload_length 0
		.amdhsa_user_sgpr_kernarg_preload_offset 0
		.amdhsa_user_sgpr_private_segment_size 0
		.amdhsa_uses_dynamic_stack 0
		.amdhsa_enable_private_segment 0
		.amdhsa_system_sgpr_workgroup_id_x 1
		.amdhsa_system_sgpr_workgroup_id_y 0
		.amdhsa_system_sgpr_workgroup_id_z 0
		.amdhsa_system_sgpr_workgroup_info 0
		.amdhsa_system_vgpr_workitem_id 0
		.amdhsa_next_free_vgpr 118
		.amdhsa_next_free_sgpr 42
		.amdhsa_accum_offset 120
		.amdhsa_reserve_vcc 1
		.amdhsa_float_round_mode_32 0
		.amdhsa_float_round_mode_16_64 0
		.amdhsa_float_denorm_mode_32 3
		.amdhsa_float_denorm_mode_16_64 3
		.amdhsa_dx10_clamp 1
		.amdhsa_ieee_mode 1
		.amdhsa_fp16_overflow 0
		.amdhsa_tg_split 0
		.amdhsa_exception_fp_ieee_invalid_op 0
		.amdhsa_exception_fp_denorm_src 0
		.amdhsa_exception_fp_ieee_div_zero 0
		.amdhsa_exception_fp_ieee_overflow 0
		.amdhsa_exception_fp_ieee_underflow 0
		.amdhsa_exception_fp_ieee_inexact 0
		.amdhsa_exception_int_div_zero 0
	.end_amdhsa_kernel
	.text
.Lfunc_end0:
	.size	fft_rtc_back_len1040_factors_13_16_5_wgs_208_tpt_208_halfLds_sp_op_CI_CI_sbrr_dirReg, .Lfunc_end0-fft_rtc_back_len1040_factors_13_16_5_wgs_208_tpt_208_halfLds_sp_op_CI_CI_sbrr_dirReg
                                        ; -- End function
	.section	.AMDGPU.csdata,"",@progbits
; Kernel info:
; codeLenInByte = 8180
; NumSgprs: 48
; NumVgprs: 118
; NumAgprs: 0
; TotalNumVgprs: 118
; ScratchSize: 0
; MemoryBound: 0
; FloatMode: 240
; IeeeMode: 1
; LDSByteSize: 0 bytes/workgroup (compile time only)
; SGPRBlocks: 5
; VGPRBlocks: 14
; NumSGPRsForWavesPerEU: 48
; NumVGPRsForWavesPerEU: 118
; AccumOffset: 120
; Occupancy: 4
; WaveLimiterHint : 1
; COMPUTE_PGM_RSRC2:SCRATCH_EN: 0
; COMPUTE_PGM_RSRC2:USER_SGPR: 2
; COMPUTE_PGM_RSRC2:TRAP_HANDLER: 0
; COMPUTE_PGM_RSRC2:TGID_X_EN: 1
; COMPUTE_PGM_RSRC2:TGID_Y_EN: 0
; COMPUTE_PGM_RSRC2:TGID_Z_EN: 0
; COMPUTE_PGM_RSRC2:TIDIG_COMP_CNT: 0
; COMPUTE_PGM_RSRC3_GFX90A:ACCUM_OFFSET: 29
; COMPUTE_PGM_RSRC3_GFX90A:TG_SPLIT: 0
	.text
	.p2alignl 6, 3212836864
	.fill 256, 4, 3212836864
	.type	__hip_cuid_6d6360fb138750c5,@object ; @__hip_cuid_6d6360fb138750c5
	.section	.bss,"aw",@nobits
	.globl	__hip_cuid_6d6360fb138750c5
__hip_cuid_6d6360fb138750c5:
	.byte	0                               ; 0x0
	.size	__hip_cuid_6d6360fb138750c5, 1

	.ident	"AMD clang version 19.0.0git (https://github.com/RadeonOpenCompute/llvm-project roc-6.4.0 25133 c7fe45cf4b819c5991fe208aaa96edf142730f1d)"
	.section	".note.GNU-stack","",@progbits
	.addrsig
	.addrsig_sym __hip_cuid_6d6360fb138750c5
	.amdgpu_metadata
---
amdhsa.kernels:
  - .agpr_count:     0
    .args:
      - .actual_access:  read_only
        .address_space:  global
        .offset:         0
        .size:           8
        .value_kind:     global_buffer
      - .offset:         8
        .size:           8
        .value_kind:     by_value
      - .actual_access:  read_only
        .address_space:  global
        .offset:         16
        .size:           8
        .value_kind:     global_buffer
      - .actual_access:  read_only
        .address_space:  global
        .offset:         24
        .size:           8
        .value_kind:     global_buffer
      - .actual_access:  read_only
        .address_space:  global
        .offset:         32
        .size:           8
        .value_kind:     global_buffer
      - .offset:         40
        .size:           8
        .value_kind:     by_value
      - .actual_access:  read_only
        .address_space:  global
        .offset:         48
        .size:           8
        .value_kind:     global_buffer
      - .actual_access:  read_only
        .address_space:  global
        .offset:         56
        .size:           8
        .value_kind:     global_buffer
      - .offset:         64
        .size:           4
        .value_kind:     by_value
      - .actual_access:  read_only
        .address_space:  global
        .offset:         72
        .size:           8
        .value_kind:     global_buffer
      - .actual_access:  read_only
        .address_space:  global
        .offset:         80
        .size:           8
        .value_kind:     global_buffer
      - .actual_access:  read_only
        .address_space:  global
        .offset:         88
        .size:           8
        .value_kind:     global_buffer
      - .actual_access:  write_only
        .address_space:  global
        .offset:         96
        .size:           8
        .value_kind:     global_buffer
    .group_segment_fixed_size: 0
    .kernarg_segment_align: 8
    .kernarg_segment_size: 104
    .language:       OpenCL C
    .language_version:
      - 2
      - 0
    .max_flat_workgroup_size: 208
    .name:           fft_rtc_back_len1040_factors_13_16_5_wgs_208_tpt_208_halfLds_sp_op_CI_CI_sbrr_dirReg
    .private_segment_fixed_size: 0
    .sgpr_count:     48
    .sgpr_spill_count: 0
    .symbol:         fft_rtc_back_len1040_factors_13_16_5_wgs_208_tpt_208_halfLds_sp_op_CI_CI_sbrr_dirReg.kd
    .uniform_work_group_size: 1
    .uses_dynamic_stack: false
    .vgpr_count:     118
    .vgpr_spill_count: 0
    .wavefront_size: 64
amdhsa.target:   amdgcn-amd-amdhsa--gfx950
amdhsa.version:
  - 1
  - 2
...

	.end_amdgpu_metadata
